;; amdgpu-corpus repo=ggml-org/llama.cpp kind=compiled arch=gfx1100 opt=O3
	.text
	.amdgcn_target "amdgcn-amd-amdhsa--gfx1100"
	.amdhsa_code_object_version 6
	.section	.text._ZL10argmax_f32PKfPil,"axG",@progbits,_ZL10argmax_f32PKfPil,comdat
	.globl	_ZL10argmax_f32PKfPil           ; -- Begin function _ZL10argmax_f32PKfPil
	.p2align	8
	.type	_ZL10argmax_f32PKfPil,@function
_ZL10argmax_f32PKfPil:                  ; @_ZL10argmax_f32PKfPil
; %bb.0:
	s_load_b64 s[6:7], s[0:1], 0x10
	v_mov_b32_e32 v1, 0
	s_add_u32 s8, s0, 24
	s_mov_b32 s2, s15
	s_mov_b32 s3, 0
	s_addc_u32 s9, s1, 0
	s_mov_b32 s4, exec_lo
                                        ; implicit-def: $sgpr13
                                        ; implicit-def: $sgpr12
                                        ; implicit-def: $sgpr11
	s_waitcnt lgkmcnt(0)
	v_cmpx_le_i64_e64 s[6:7], v[0:1]
	s_xor_b32 s4, exec_lo, s4
	s_cbranch_execz .LBB0_2
; %bb.1:
	s_load_b32 s11, s[8:9], 0xc
	s_mov_b32 s12, -1
	s_mov_b32 s13, 0xff7fffff
.LBB0_2:
	s_or_saveexec_b32 s10, s4
	s_load_b64 s[4:5], s[0:1], 0x8
	v_dual_mov_b32 v6, s13 :: v_dual_mov_b32 v7, s12
	s_waitcnt lgkmcnt(0)
	v_mov_b32_e32 v3, s11
	s_xor_b32 exec_lo, exec_lo, s10
	s_cbranch_execz .LBB0_6
; %bb.3:
	s_load_b64 s[12:13], s[0:1], 0x0
	s_load_b32 s1, s[8:9], 0xc
	s_mul_i32 s0, s2, s7
	s_mul_hi_u32 s9, s2, s6
	s_mul_i32 s8, s2, s6
	s_add_i32 s9, s9, s0
	v_dual_mov_b32 v2, v1 :: v_dual_mov_b32 v3, v0
	v_dual_mov_b32 v6, 0xff7fffff :: v_dual_mov_b32 v7, -1
	v_mov_b32_e32 v1, v0
	s_lshl_b64 s[8:9], s[8:9], 2
	s_mov_b32 s11, 0
	s_waitcnt lgkmcnt(0)
	s_add_u32 s8, s12, s8
	s_addc_u32 s9, s13, s9
	s_and_b32 s12, s1, 0xffff
	.p2align	6
.LBB0_4:                                ; =>This Inner Loop Header: Depth=1
	v_lshlrev_b64 v[1:2], 2, v[1:2]
	s_delay_alu instid0(VALU_DEP_1) | instskip(NEXT) | instid1(VALU_DEP_2)
	v_add_co_u32 v1, vcc_lo, s8, v1
	v_add_co_ci_u32_e32 v2, vcc_lo, s9, v2, vcc_lo
	global_load_b32 v4, v[1:2], off
	s_waitcnt vmcnt(0)
	v_cmp_gt_f32_e32 vcc_lo, v4, v6
	v_dual_cndmask_b32 v6, v6, v4 :: v_dual_add_nc_u32 v1, s12, v3
	s_delay_alu instid0(VALU_DEP_1) | instskip(SKIP_2) | instid1(VALU_DEP_3)
	v_ashrrev_i32_e32 v2, 31, v1
	v_cndmask_b32_e32 v7, v7, v3, vcc_lo
	v_mov_b32_e32 v3, v1
	v_cmp_le_i64_e64 s0, s[6:7], v[1:2]
	s_delay_alu instid0(VALU_DEP_1) | instskip(NEXT) | instid1(SALU_CYCLE_1)
	s_or_b32 s11, s0, s11
	s_and_not1_b32 exec_lo, exec_lo, s11
	s_cbranch_execnz .LBB0_4
; %bb.5:
	s_or_b32 exec_lo, exec_lo, s11
	v_mov_b32_e32 v3, s1
.LBB0_6:
	s_or_b32 exec_lo, exec_lo, s10
	v_mbcnt_lo_u32_b32 v1, -1, 0
	s_mov_b32 s1, exec_lo
	s_delay_alu instid0(VALU_DEP_1) | instskip(SKIP_1) | instid1(VALU_DEP_2)
	v_xor_b32_e32 v2, 16, v1
	v_xor_b32_e32 v5, 8, v1
	v_cmp_gt_i32_e32 vcc_lo, 32, v2
	v_cndmask_b32_e32 v2, v1, v2, vcc_lo
	s_delay_alu instid0(VALU_DEP_3) | instskip(SKIP_1) | instid1(VALU_DEP_1)
	v_cmp_gt_i32_e32 vcc_lo, 32, v5
	v_cndmask_b32_e32 v5, v1, v5, vcc_lo
	v_lshlrev_b32_e32 v5, 2, v5
	s_delay_alu instid0(VALU_DEP_4)
	v_lshlrev_b32_e32 v4, 2, v2
	ds_bpermute_b32 v2, v4, v6
	ds_bpermute_b32 v8, v4, v7
	s_waitcnt lgkmcnt(1)
	v_cmp_lt_f32_e32 vcc_lo, v6, v2
	s_waitcnt lgkmcnt(0)
	v_dual_cndmask_b32 v7, v7, v8 :: v_dual_cndmask_b32 v2, v6, v2
	v_xor_b32_e32 v6, 4, v1
	ds_bpermute_b32 v9, v5, v7
	ds_bpermute_b32 v8, v5, v2
	v_cmp_gt_i32_e32 vcc_lo, 32, v6
	v_cndmask_b32_e32 v6, v1, v6, vcc_lo
	s_waitcnt lgkmcnt(0)
	v_cmp_lt_f32_e32 vcc_lo, v2, v8
	v_cndmask_b32_e32 v9, v7, v9, vcc_lo
	v_xor_b32_e32 v7, 2, v1
	v_cndmask_b32_e32 v2, v2, v8, vcc_lo
	s_delay_alu instid0(VALU_DEP_2)
	v_cmp_gt_i32_e32 vcc_lo, 32, v7
	v_dual_cndmask_b32 v7, v1, v7 :: v_dual_lshlrev_b32 v6, 2, v6
	ds_bpermute_b32 v10, v6, v9
	v_lshlrev_b32_e32 v7, 2, v7
	ds_bpermute_b32 v8, v6, v2
	s_waitcnt lgkmcnt(0)
	v_cmp_lt_f32_e32 vcc_lo, v2, v8
	v_dual_cndmask_b32 v9, v9, v10 :: v_dual_cndmask_b32 v2, v2, v8
	v_xor_b32_e32 v8, 1, v1
	ds_bpermute_b32 v11, v7, v9
	ds_bpermute_b32 v10, v7, v2
	v_cmp_gt_i32_e32 vcc_lo, 32, v8
	v_cndmask_b32_e32 v1, v1, v8, vcc_lo
	s_waitcnt lgkmcnt(0)
	v_cmp_lt_f32_e32 vcc_lo, v2, v10
	v_cndmask_b32_e32 v2, v2, v10, vcc_lo
	s_delay_alu instid0(VALU_DEP_3)
	v_dual_cndmask_b32 v1, v9, v11 :: v_dual_lshlrev_b32 v8, 2, v1
	ds_bpermute_b32 v10, v8, v2
	ds_bpermute_b32 v9, v8, v1
	s_waitcnt lgkmcnt(1)
	v_cmp_lt_f32_e32 vcc_lo, v2, v10
	s_waitcnt lgkmcnt(0)
	v_cndmask_b32_e32 v1, v1, v9, vcc_lo
	v_cmpx_lt_u16_e32 63, v3
	s_cbranch_execz .LBB0_14
; %bb.7:
	v_dual_cndmask_b32 v2, v2, v10 :: v_dual_and_b32 v9, 31, v0
	s_mov_b32 s0, exec_lo
	s_delay_alu instid0(VALU_DEP_1)
	v_cmpx_eq_u32_e32 0, v9
	s_cbranch_execz .LBB0_9
; %bb.8:
	v_lshrrev_b32_e32 v10, 3, v0
	ds_store_2addr_b32 v10, v1, v2 offset1:32
.LBB0_9:
	s_or_b32 exec_lo, exec_lo, s0
	s_delay_alu instid0(SALU_CYCLE_1)
	s_mov_b32 s0, exec_lo
	s_waitcnt lgkmcnt(0)
	s_barrier
	buffer_gl0_inv
	v_cmpx_gt_u32_e32 32, v0
	s_cbranch_execz .LBB0_13
; %bb.10:
	v_lshrrev_b16 v3, 5, v3
	s_mov_b32 s6, exec_lo
	s_delay_alu instid0(VALU_DEP_1) | instskip(NEXT) | instid1(VALU_DEP_1)
	v_and_b32_e32 v3, 0xffff, v3
	v_cmpx_lt_u32_e64 v9, v3
	s_cbranch_execz .LBB0_12
; %bb.11:
	v_lshlrev_b32_e32 v1, 2, v9
	ds_load_2addr_b32 v[1:2], v1 offset1:32
.LBB0_12:
	s_or_b32 exec_lo, exec_lo, s6
	s_waitcnt lgkmcnt(0)
	ds_bpermute_b32 v3, v4, v2
	ds_bpermute_b32 v4, v4, v1
	s_waitcnt lgkmcnt(1)
	v_cmp_lt_f32_e32 vcc_lo, v2, v3
	s_waitcnt lgkmcnt(0)
	v_dual_cndmask_b32 v1, v1, v4 :: v_dual_cndmask_b32 v2, v2, v3
	ds_bpermute_b32 v4, v5, v1
	ds_bpermute_b32 v3, v5, v2
	s_waitcnt lgkmcnt(0)
	v_cmp_lt_f32_e32 vcc_lo, v2, v3
	v_dual_cndmask_b32 v1, v1, v4 :: v_dual_cndmask_b32 v2, v2, v3
	ds_bpermute_b32 v4, v6, v1
	ds_bpermute_b32 v3, v6, v2
	s_waitcnt lgkmcnt(0)
	v_cmp_lt_f32_e32 vcc_lo, v2, v3
	;; [unrolled: 5-line block ×4, first 2 shown]
	v_cndmask_b32_e32 v1, v1, v4, vcc_lo
.LBB0_13:
	s_or_b32 exec_lo, exec_lo, s0
.LBB0_14:
	s_delay_alu instid0(SALU_CYCLE_1) | instskip(NEXT) | instid1(SALU_CYCLE_1)
	s_or_b32 exec_lo, exec_lo, s1
	s_mov_b32 s0, exec_lo
	v_cmpx_eq_u32_e32 0, v0
	s_cbranch_execz .LBB0_16
; %bb.15:
	s_lshl_b64 s[0:1], s[2:3], 2
	v_mov_b32_e32 v0, 0
	s_add_u32 s0, s4, s0
	s_addc_u32 s1, s5, s1
	global_store_b32 v0, v1, s[0:1]
.LBB0_16:
	s_nop 0
	s_sendmsg sendmsg(MSG_DEALLOC_VGPRS)
	s_endpgm
	.section	.rodata,"a",@progbits
	.p2align	6, 0x0
	.amdhsa_kernel _ZL10argmax_f32PKfPil
		.amdhsa_group_segment_fixed_size 256
		.amdhsa_private_segment_fixed_size 0
		.amdhsa_kernarg_size 280
		.amdhsa_user_sgpr_count 15
		.amdhsa_user_sgpr_dispatch_ptr 0
		.amdhsa_user_sgpr_queue_ptr 0
		.amdhsa_user_sgpr_kernarg_segment_ptr 1
		.amdhsa_user_sgpr_dispatch_id 0
		.amdhsa_user_sgpr_private_segment_size 0
		.amdhsa_wavefront_size32 1
		.amdhsa_uses_dynamic_stack 0
		.amdhsa_enable_private_segment 0
		.amdhsa_system_sgpr_workgroup_id_x 1
		.amdhsa_system_sgpr_workgroup_id_y 0
		.amdhsa_system_sgpr_workgroup_id_z 0
		.amdhsa_system_sgpr_workgroup_info 0
		.amdhsa_system_vgpr_workitem_id 0
		.amdhsa_next_free_vgpr 12
		.amdhsa_next_free_sgpr 16
		.amdhsa_reserve_vcc 1
		.amdhsa_float_round_mode_32 0
		.amdhsa_float_round_mode_16_64 0
		.amdhsa_float_denorm_mode_32 3
		.amdhsa_float_denorm_mode_16_64 3
		.amdhsa_dx10_clamp 1
		.amdhsa_ieee_mode 1
		.amdhsa_fp16_overflow 0
		.amdhsa_workgroup_processor_mode 1
		.amdhsa_memory_ordered 1
		.amdhsa_forward_progress 0
		.amdhsa_shared_vgpr_count 0
		.amdhsa_exception_fp_ieee_invalid_op 0
		.amdhsa_exception_fp_denorm_src 0
		.amdhsa_exception_fp_ieee_div_zero 0
		.amdhsa_exception_fp_ieee_overflow 0
		.amdhsa_exception_fp_ieee_underflow 0
		.amdhsa_exception_fp_ieee_inexact 0
		.amdhsa_exception_int_div_zero 0
	.end_amdhsa_kernel
	.section	.text._ZL10argmax_f32PKfPil,"axG",@progbits,_ZL10argmax_f32PKfPil,comdat
.Lfunc_end0:
	.size	_ZL10argmax_f32PKfPil, .Lfunc_end0-_ZL10argmax_f32PKfPil
                                        ; -- End function
	.section	.AMDGPU.csdata,"",@progbits
; Kernel info:
; codeLenInByte = 924
; NumSgprs: 18
; NumVgprs: 12
; ScratchSize: 0
; MemoryBound: 0
; FloatMode: 240
; IeeeMode: 1
; LDSByteSize: 256 bytes/workgroup (compile time only)
; SGPRBlocks: 2
; VGPRBlocks: 1
; NumSGPRsForWavesPerEU: 18
; NumVGPRsForWavesPerEU: 12
; Occupancy: 16
; WaveLimiterHint : 0
; COMPUTE_PGM_RSRC2:SCRATCH_EN: 0
; COMPUTE_PGM_RSRC2:USER_SGPR: 15
; COMPUTE_PGM_RSRC2:TRAP_HANDLER: 0
; COMPUTE_PGM_RSRC2:TGID_X_EN: 1
; COMPUTE_PGM_RSRC2:TGID_Y_EN: 0
; COMPUTE_PGM_RSRC2:TGID_Z_EN: 0
; COMPUTE_PGM_RSRC2:TIDIG_COMP_CNT: 0
	.text
	.p2alignl 7, 3214868480
	.fill 96, 4, 3214868480
	.type	__hip_cuid_88c512e4f9686033,@object ; @__hip_cuid_88c512e4f9686033
	.section	.bss,"aw",@nobits
	.globl	__hip_cuid_88c512e4f9686033
__hip_cuid_88c512e4f9686033:
	.byte	0                               ; 0x0
	.size	__hip_cuid_88c512e4f9686033, 1

	.ident	"AMD clang version 19.0.0git (https://github.com/RadeonOpenCompute/llvm-project roc-6.4.0 25133 c7fe45cf4b819c5991fe208aaa96edf142730f1d)"
	.section	".note.GNU-stack","",@progbits
	.addrsig
	.addrsig_sym __hip_cuid_88c512e4f9686033
	.amdgpu_metadata
---
amdhsa.kernels:
  - .args:
      - .actual_access:  read_only
        .address_space:  global
        .offset:         0
        .size:           8
        .value_kind:     global_buffer
      - .actual_access:  write_only
        .address_space:  global
        .offset:         8
        .size:           8
        .value_kind:     global_buffer
      - .offset:         16
        .size:           8
        .value_kind:     by_value
      - .offset:         24
        .size:           4
        .value_kind:     hidden_block_count_x
      - .offset:         28
        .size:           4
        .value_kind:     hidden_block_count_y
      - .offset:         32
        .size:           4
        .value_kind:     hidden_block_count_z
      - .offset:         36
        .size:           2
        .value_kind:     hidden_group_size_x
      - .offset:         38
        .size:           2
        .value_kind:     hidden_group_size_y
      - .offset:         40
        .size:           2
        .value_kind:     hidden_group_size_z
      - .offset:         42
        .size:           2
        .value_kind:     hidden_remainder_x
      - .offset:         44
        .size:           2
        .value_kind:     hidden_remainder_y
      - .offset:         46
        .size:           2
        .value_kind:     hidden_remainder_z
      - .offset:         64
        .size:           8
        .value_kind:     hidden_global_offset_x
      - .offset:         72
        .size:           8
        .value_kind:     hidden_global_offset_y
      - .offset:         80
        .size:           8
        .value_kind:     hidden_global_offset_z
      - .offset:         88
        .size:           2
        .value_kind:     hidden_grid_dims
    .group_segment_fixed_size: 256
    .kernarg_segment_align: 8
    .kernarg_segment_size: 280
    .language:       OpenCL C
    .language_version:
      - 2
      - 0
    .max_flat_workgroup_size: 1024
    .name:           _ZL10argmax_f32PKfPil
    .private_segment_fixed_size: 0
    .sgpr_count:     18
    .sgpr_spill_count: 0
    .symbol:         _ZL10argmax_f32PKfPil.kd
    .uniform_work_group_size: 1
    .uses_dynamic_stack: false
    .vgpr_count:     12
    .vgpr_spill_count: 0
    .wavefront_size: 32
    .workgroup_processor_mode: 1
amdhsa.target:   amdgcn-amd-amdhsa--gfx1100
amdhsa.version:
  - 1
  - 2
...

	.end_amdgpu_metadata
